;; amdgpu-corpus repo=ROCm/rocFFT kind=compiled arch=gfx950 opt=O3
	.text
	.amdgcn_target "amdgcn-amd-amdhsa--gfx950"
	.amdhsa_code_object_version 6
	.protected	fft_rtc_back_len1386_factors_2_7_3_11_3_wgs_231_tpt_231_halfLds_sp_op_CI_CI_unitstride_sbrr_C2R_dirReg ; -- Begin function fft_rtc_back_len1386_factors_2_7_3_11_3_wgs_231_tpt_231_halfLds_sp_op_CI_CI_unitstride_sbrr_C2R_dirReg
	.globl	fft_rtc_back_len1386_factors_2_7_3_11_3_wgs_231_tpt_231_halfLds_sp_op_CI_CI_unitstride_sbrr_C2R_dirReg
	.p2align	8
	.type	fft_rtc_back_len1386_factors_2_7_3_11_3_wgs_231_tpt_231_halfLds_sp_op_CI_CI_unitstride_sbrr_C2R_dirReg,@function
fft_rtc_back_len1386_factors_2_7_3_11_3_wgs_231_tpt_231_halfLds_sp_op_CI_CI_unitstride_sbrr_C2R_dirReg: ; @fft_rtc_back_len1386_factors_2_7_3_11_3_wgs_231_tpt_231_halfLds_sp_op_CI_CI_unitstride_sbrr_C2R_dirReg
; %bb.0:
	s_load_dwordx4 s[4:7], s[0:1], 0x58
	s_load_dwordx4 s[8:11], s[0:1], 0x0
	;; [unrolled: 1-line block ×3, first 2 shown]
	v_mul_u32_u24_e32 v1, 0x11c, v0
	v_add_u32_sdwa v6, s2, v1 dst_sel:DWORD dst_unused:UNUSED_PAD src0_sel:DWORD src1_sel:WORD_1
	v_mov_b32_e32 v4, 0
	s_waitcnt lgkmcnt(0)
	v_cmp_lt_u64_e64 s[2:3], s[10:11], 2
	v_mov_b32_e32 v7, v4
	s_and_b64 vcc, exec, s[2:3]
	v_mov_b64_e32 v[2:3], 0
	s_cbranch_vccnz .LBB0_8
; %bb.1:
	s_load_dwordx2 s[2:3], s[0:1], 0x10
	s_add_u32 s16, s14, 8
	s_addc_u32 s17, s15, 0
	s_add_u32 s18, s12, 8
	s_addc_u32 s19, s13, 0
	s_waitcnt lgkmcnt(0)
	s_add_u32 s20, s2, 8
	v_mov_b64_e32 v[2:3], 0
	s_addc_u32 s21, s3, 0
	s_mov_b64 s[22:23], 1
	v_mov_b64_e32 v[32:33], v[2:3]
.LBB0_2:                                ; =>This Inner Loop Header: Depth=1
	s_load_dwordx2 s[24:25], s[20:21], 0x0
                                        ; implicit-def: $vgpr34_vgpr35
	s_waitcnt lgkmcnt(0)
	v_or_b32_e32 v5, s25, v7
	v_cmp_ne_u64_e32 vcc, 0, v[4:5]
	s_and_saveexec_b64 s[2:3], vcc
	s_xor_b64 s[26:27], exec, s[2:3]
	s_cbranch_execz .LBB0_4
; %bb.3:                                ;   in Loop: Header=BB0_2 Depth=1
	v_cvt_f32_u32_e32 v1, s24
	v_cvt_f32_u32_e32 v5, s25
	s_sub_u32 s2, 0, s24
	s_subb_u32 s3, 0, s25
	v_fmac_f32_e32 v1, 0x4f800000, v5
	v_rcp_f32_e32 v1, v1
	s_nop 0
	v_mul_f32_e32 v1, 0x5f7ffffc, v1
	v_mul_f32_e32 v5, 0x2f800000, v1
	v_trunc_f32_e32 v5, v5
	v_fmac_f32_e32 v1, 0xcf800000, v5
	v_cvt_u32_f32_e32 v5, v5
	v_cvt_u32_f32_e32 v1, v1
	v_mul_lo_u32 v8, s2, v5
	v_mul_hi_u32 v10, s2, v1
	v_mul_lo_u32 v9, s3, v1
	v_add_u32_e32 v10, v10, v8
	v_mul_lo_u32 v12, s2, v1
	v_add_u32_e32 v13, v10, v9
	v_mul_hi_u32 v8, v1, v12
	v_mul_hi_u32 v11, v1, v13
	v_mul_lo_u32 v10, v1, v13
	v_mov_b32_e32 v9, v4
	v_lshl_add_u64 v[8:9], v[8:9], 0, v[10:11]
	v_mul_hi_u32 v11, v5, v12
	v_mul_lo_u32 v12, v5, v12
	v_add_co_u32_e32 v8, vcc, v8, v12
	v_mul_hi_u32 v10, v5, v13
	s_nop 0
	v_addc_co_u32_e32 v8, vcc, v9, v11, vcc
	v_mov_b32_e32 v9, v4
	s_nop 0
	v_addc_co_u32_e32 v11, vcc, 0, v10, vcc
	v_mul_lo_u32 v10, v5, v13
	v_lshl_add_u64 v[8:9], v[8:9], 0, v[10:11]
	v_add_co_u32_e32 v1, vcc, v1, v8
	v_mul_lo_u32 v10, s2, v1
	s_nop 0
	v_addc_co_u32_e32 v5, vcc, v5, v9, vcc
	v_mul_lo_u32 v8, s2, v5
	v_mul_hi_u32 v9, s2, v1
	v_add_u32_e32 v8, v9, v8
	v_mul_lo_u32 v9, s3, v1
	v_add_u32_e32 v12, v8, v9
	v_mul_hi_u32 v14, v5, v10
	v_mul_lo_u32 v15, v5, v10
	v_mul_hi_u32 v9, v1, v12
	v_mul_lo_u32 v8, v1, v12
	v_mul_hi_u32 v10, v1, v10
	v_mov_b32_e32 v11, v4
	v_lshl_add_u64 v[8:9], v[10:11], 0, v[8:9]
	v_add_co_u32_e32 v8, vcc, v8, v15
	v_mul_hi_u32 v13, v5, v12
	s_nop 0
	v_addc_co_u32_e32 v8, vcc, v9, v14, vcc
	v_mul_lo_u32 v10, v5, v12
	s_nop 0
	v_addc_co_u32_e32 v11, vcc, 0, v13, vcc
	v_mov_b32_e32 v9, v4
	v_lshl_add_u64 v[8:9], v[8:9], 0, v[10:11]
	v_add_co_u32_e32 v1, vcc, v1, v8
	v_mul_hi_u32 v10, v6, v1
	s_nop 0
	v_addc_co_u32_e32 v5, vcc, v5, v9, vcc
	v_mad_u64_u32 v[8:9], s[2:3], v6, v5, 0
	v_mov_b32_e32 v11, v4
	v_lshl_add_u64 v[8:9], v[10:11], 0, v[8:9]
	v_mad_u64_u32 v[12:13], s[2:3], v7, v1, 0
	v_add_co_u32_e32 v1, vcc, v8, v12
	v_mad_u64_u32 v[10:11], s[2:3], v7, v5, 0
	s_nop 0
	v_addc_co_u32_e32 v8, vcc, v9, v13, vcc
	v_mov_b32_e32 v9, v4
	s_nop 0
	v_addc_co_u32_e32 v11, vcc, 0, v11, vcc
	v_lshl_add_u64 v[8:9], v[8:9], 0, v[10:11]
	v_mul_lo_u32 v1, s25, v8
	v_mul_lo_u32 v5, s24, v9
	v_mad_u64_u32 v[10:11], s[2:3], s24, v8, 0
	v_add3_u32 v1, v11, v5, v1
	v_sub_u32_e32 v5, v7, v1
	v_mov_b32_e32 v11, s25
	v_sub_co_u32_e32 v14, vcc, v6, v10
	v_lshl_add_u64 v[12:13], v[8:9], 0, 1
	s_nop 0
	v_subb_co_u32_e64 v5, s[2:3], v5, v11, vcc
	v_subrev_co_u32_e64 v10, s[2:3], s24, v14
	v_subb_co_u32_e32 v1, vcc, v7, v1, vcc
	s_nop 0
	v_subbrev_co_u32_e64 v5, s[2:3], 0, v5, s[2:3]
	v_cmp_le_u32_e64 s[2:3], s25, v5
	v_cmp_le_u32_e32 vcc, s25, v1
	s_nop 0
	v_cndmask_b32_e64 v11, 0, -1, s[2:3]
	v_cmp_le_u32_e64 s[2:3], s24, v10
	s_nop 1
	v_cndmask_b32_e64 v10, 0, -1, s[2:3]
	v_cmp_eq_u32_e64 s[2:3], s25, v5
	s_nop 1
	v_cndmask_b32_e64 v5, v11, v10, s[2:3]
	v_lshl_add_u64 v[10:11], v[8:9], 0, 2
	v_cmp_ne_u32_e64 s[2:3], 0, v5
	s_nop 1
	v_cndmask_b32_e64 v5, v13, v11, s[2:3]
	v_cndmask_b32_e64 v11, 0, -1, vcc
	v_cmp_le_u32_e32 vcc, s24, v14
	s_nop 1
	v_cndmask_b32_e64 v13, 0, -1, vcc
	v_cmp_eq_u32_e32 vcc, s25, v1
	s_nop 1
	v_cndmask_b32_e32 v1, v11, v13, vcc
	v_cmp_ne_u32_e32 vcc, 0, v1
	v_cndmask_b32_e64 v1, v12, v10, s[2:3]
	s_nop 0
	v_cndmask_b32_e32 v35, v9, v5, vcc
	v_cndmask_b32_e32 v34, v8, v1, vcc
.LBB0_4:                                ;   in Loop: Header=BB0_2 Depth=1
	s_andn2_saveexec_b64 s[2:3], s[26:27]
	s_cbranch_execz .LBB0_6
; %bb.5:                                ;   in Loop: Header=BB0_2 Depth=1
	v_cvt_f32_u32_e32 v1, s24
	s_sub_i32 s26, 0, s24
	v_mov_b32_e32 v35, v4
	v_rcp_iflag_f32_e32 v1, v1
	s_nop 0
	v_mul_f32_e32 v1, 0x4f7ffffe, v1
	v_cvt_u32_f32_e32 v1, v1
	v_mul_lo_u32 v5, s26, v1
	v_mul_hi_u32 v5, v1, v5
	v_add_u32_e32 v1, v1, v5
	v_mul_hi_u32 v1, v6, v1
	v_mul_lo_u32 v5, v1, s24
	v_sub_u32_e32 v5, v6, v5
	v_add_u32_e32 v8, 1, v1
	v_subrev_u32_e32 v9, s24, v5
	v_cmp_le_u32_e32 vcc, s24, v5
	s_nop 1
	v_cndmask_b32_e32 v5, v5, v9, vcc
	v_cndmask_b32_e32 v1, v1, v8, vcc
	v_add_u32_e32 v8, 1, v1
	v_cmp_le_u32_e32 vcc, s24, v5
	s_nop 1
	v_cndmask_b32_e32 v34, v1, v8, vcc
.LBB0_6:                                ;   in Loop: Header=BB0_2 Depth=1
	s_or_b64 exec, exec, s[2:3]
	v_mad_u64_u32 v[8:9], s[2:3], v34, s24, 0
	s_load_dwordx2 s[2:3], s[18:19], 0x0
	v_mul_lo_u32 v1, v35, s24
	v_mul_lo_u32 v5, v34, s25
	s_load_dwordx2 s[24:25], s[16:17], 0x0
	s_add_u32 s22, s22, 1
	v_add3_u32 v1, v9, v5, v1
	v_sub_co_u32_e32 v5, vcc, v6, v8
	s_addc_u32 s23, s23, 0
	s_nop 0
	v_subb_co_u32_e32 v1, vcc, v7, v1, vcc
	s_add_u32 s16, s16, 8
	s_waitcnt lgkmcnt(0)
	v_mul_lo_u32 v6, s2, v1
	v_mul_lo_u32 v7, s3, v5
	v_mad_u64_u32 v[2:3], s[2:3], s2, v5, v[2:3]
	s_addc_u32 s17, s17, 0
	v_add3_u32 v3, v7, v3, v6
	v_mul_lo_u32 v1, s24, v1
	v_mul_lo_u32 v6, s25, v5
	v_mad_u64_u32 v[32:33], s[2:3], s24, v5, v[32:33]
	s_add_u32 s18, s18, 8
	v_add3_u32 v33, v6, v33, v1
	s_addc_u32 s19, s19, 0
	v_mov_b64_e32 v[6:7], s[10:11]
	s_add_u32 s20, s20, 8
	v_cmp_ge_u64_e32 vcc, s[22:23], v[6:7]
	s_addc_u32 s21, s21, 0
	s_cbranch_vccnz .LBB0_9
; %bb.7:                                ;   in Loop: Header=BB0_2 Depth=1
	v_mov_b64_e32 v[6:7], v[34:35]
	s_branch .LBB0_2
.LBB0_8:
	v_mov_b64_e32 v[32:33], v[2:3]
	v_mov_b64_e32 v[34:35], v[6:7]
.LBB0_9:
	s_load_dwordx2 s[18:19], s[0:1], 0x28
	s_lshl_b64 s[16:17], s[10:11], 3
	s_add_u32 s2, s14, s16
	s_addc_u32 s3, s15, s17
                                        ; implicit-def: $vgpr36
	s_waitcnt lgkmcnt(0)
	v_cmp_gt_u64_e64 s[0:1], s[18:19], v[34:35]
	v_cmp_le_u64_e32 vcc, s[18:19], v[34:35]
	s_and_saveexec_b64 s[10:11], vcc
	s_xor_b64 s[10:11], exec, s[10:11]
; %bb.10:
	s_mov_b32 s14, 0x11bb4a5
	v_mul_hi_u32 v1, v0, s14
	v_mul_u32_u24_e32 v1, 0xe7, v1
	v_sub_u32_e32 v36, v0, v1
                                        ; implicit-def: $vgpr0
                                        ; implicit-def: $vgpr2_vgpr3
; %bb.11:
	s_or_saveexec_b64 s[10:11], s[10:11]
	s_load_dwordx2 s[2:3], s[2:3], 0x0
	s_xor_b64 exec, exec, s[10:11]
	s_cbranch_execz .LBB0_15
; %bb.12:
	s_add_u32 s12, s12, s16
	s_addc_u32 s13, s13, s17
	s_load_dwordx2 s[12:13], s[12:13], 0x0
	s_mov_b32 s14, 0x11bb4a5
	s_waitcnt lgkmcnt(0)
	v_mul_lo_u32 v1, s13, v34
	v_mul_lo_u32 v6, s12, v35
	v_mad_u64_u32 v[4:5], s[12:13], s12, v34, 0
	v_add3_u32 v5, v5, v6, v1
	v_mul_hi_u32 v1, v0, s14
	v_mul_u32_u24_e32 v1, 0xe7, v1
	v_sub_u32_e32 v36, v0, v1
	v_lshl_add_u64 v[0:1], v[4:5], 3, s[4:5]
	v_lshl_add_u64 v[2:3], v[2:3], 3, v[0:1]
	v_lshlrev_b32_e32 v0, 3, v36
	v_mov_b32_e32 v1, 0
	v_lshl_add_u64 v[4:5], v[2:3], 0, v[0:1]
	s_movk_i32 s4, 0x1000
	v_add_co_u32_e32 v6, vcc, s4, v4
	s_movk_i32 s4, 0xe6
	s_nop 0
	v_addc_co_u32_e32 v7, vcc, 0, v5, vcc
	global_load_dwordx2 v[8:9], v[4:5], off
	global_load_dwordx2 v[10:11], v[4:5], off offset:1848
	global_load_dwordx2 v[12:13], v[4:5], off offset:3696
	;; [unrolled: 1-line block ×3, first 2 shown]
	v_add_co_u32_e32 v4, vcc, 0x2000, v4
	v_add_u32_e32 v0, 0, v0
	s_nop 0
	v_addc_co_u32_e32 v5, vcc, 0, v5, vcc
	global_load_dwordx2 v[16:17], v[6:7], off offset:3296
	global_load_dwordx2 v[18:19], v[4:5], off offset:1048
	v_cmp_eq_u32_e32 vcc, s4, v36
	v_add_u32_e32 v4, 0xe00, v0
	v_add_u32_e32 v5, 0x1c80, v0
	s_waitcnt vmcnt(4)
	ds_write2_b64 v0, v[8:9], v[10:11] offset1:231
	s_waitcnt vmcnt(2)
	ds_write2_b64 v4, v[12:13], v[14:15] offset0:14 offset1:245
	s_waitcnt vmcnt(0)
	ds_write2_b64 v5, v[16:17], v[18:19] offset0:12 offset1:243
	s_and_saveexec_b64 s[4:5], vcc
	s_cbranch_execz .LBB0_14
; %bb.13:
	v_add_co_u32_e32 v2, vcc, 0x2000, v2
	v_mov_b32_e32 v36, 0xe6
	s_nop 0
	v_addc_co_u32_e32 v3, vcc, 0, v3, vcc
	global_load_dwordx2 v[2:3], v[2:3], off offset:2896
	s_waitcnt vmcnt(0)
	ds_write_b64 v1, v[2:3] offset:11088
.LBB0_14:
	s_or_b64 exec, exec, s[4:5]
.LBB0_15:
	s_or_b64 exec, exec, s[10:11]
	v_lshlrev_b32_e32 v0, 3, v36
	v_add_u32_e32 v44, 0, v0
	s_waitcnt lgkmcnt(0)
	s_barrier
	v_sub_u32_e32 v4, 0, v0
	ds_read_b32 v1, v44
	ds_read_b32 v2, v4 offset:11088
	s_add_u32 s4, s8, 0x2b40
	s_addc_u32 s5, s9, 0
	v_cmp_ne_u32_e32 vcc, 0, v36
	s_waitcnt lgkmcnt(0)
	v_add_f32_e32 v0, v2, v1
	v_sub_f32_e32 v1, v1, v2
                                        ; implicit-def: $vgpr2_vgpr3
	s_and_saveexec_b64 s[10:11], vcc
	s_xor_b64 s[10:11], exec, s[10:11]
	s_cbranch_execz .LBB0_17
; %bb.16:
	v_mov_b32_e32 v37, 0
	v_lshl_add_u64 v[2:3], v[36:37], 3, s[4:5]
	global_load_dwordx2 v[6:7], v[2:3], off
	ds_read_b32 v5, v4 offset:11092
	ds_read_b32 v11, v44 offset:4
	v_mov_b32_e32 v8, v1
	v_mov_b32_e32 v10, v0
	;; [unrolled: 1-line block ×3, first 2 shown]
	v_mov_b64_e32 v[2:3], v[36:37]
	s_waitcnt lgkmcnt(0)
	v_add_f32_e32 v9, v5, v11
	v_sub_f32_e32 v11, v11, v5
	v_mov_b32_e32 v12, v9
	s_waitcnt vmcnt(0)
	v_pk_mul_f32 v[14:15], v[8:9], v[6:7] op_sel:[0,1]
	v_pk_fma_f32 v[8:9], v[8:9], v[6:7], v[10:11] op_sel:[0,1,0]
	v_mov_b32_e32 v1, v15
	v_mov_b32_e32 v15, v11
	v_pk_fma_f32 v[16:17], v[6:7], v[12:13], v[8:9] neg_lo:[1,0,0] neg_hi:[1,0,0]
	v_pk_fma_f32 v[8:9], v[6:7], v[12:13], v[8:9] op_sel_hi:[0,1,1]
	v_pk_add_f32 v[0:1], v[0:1], v[14:15] neg_lo:[0,1] neg_hi:[0,1]
	v_mov_b32_e32 v17, v9
	v_pk_fma_f32 v[0:1], v[6:7], v[12:13], v[0:1] op_sel_hi:[0,1,1]
	ds_write_b64 v4, v[0:1] offset:11088
	v_mov_b64_e32 v[0:1], v[16:17]
.LBB0_17:
	s_andn2_saveexec_b64 s[10:11], s[10:11]
	s_cbranch_execz .LBB0_19
; %bb.18:
	v_mov_b32_e32 v5, 0
	ds_read_b64 v[2:3], v5 offset:5544
	s_mov_b32 s12, 2.0
	s_mov_b32 s13, -2.0
	s_waitcnt lgkmcnt(0)
	v_pk_mul_f32 v[2:3], v[2:3], s[12:13]
	ds_write_b64 v5, v[2:3] offset:5544
	v_mov_b64_e32 v[2:3], 0
.LBB0_19:
	s_or_b64 exec, exec, s[10:11]
	v_lshl_add_u64 v[2:3], v[2:3], 3, s[4:5]
	global_load_dwordx2 v[6:7], v[2:3], off offset:1848
	global_load_dwordx2 v[8:9], v[2:3], off offset:3696
	ds_write_b64 v44, v[0:1]
	ds_read_b64 v[0:1], v4 offset:9240
	ds_read_b64 v[2:3], v44 offset:1848
	v_add_u32_e32 v16, 0x1c80, v44
	v_add_u32_e32 v5, 0xe00, v44
	s_movk_i32 s4, 0xc6
	v_add_u32_e32 v28, 0xe7, v36
	s_waitcnt lgkmcnt(0)
	v_pk_add_f32 v[10:11], v[2:3], v[0:1]
	v_pk_add_f32 v[0:1], v[2:3], v[0:1] neg_lo:[0,1] neg_hi:[0,1]
	v_mov_b32_e32 v2, v11
	v_mov_b32_e32 v3, v0
	;; [unrolled: 1-line block ×3, first 2 shown]
	v_lshl_add_u32 v20, v36, 3, v44
	v_cmp_gt_u32_e32 vcc, s4, v36
	v_lshl_add_u32 v21, v28, 4, 0
	s_waitcnt vmcnt(1)
	v_pk_mul_f32 v[12:13], v[2:3], v[6:7] op_sel:[0,1]
	s_nop 0
	v_pk_add_f32 v[14:15], v[10:11], v[12:13] op_sel:[0,1] op_sel_hi:[1,0]
	v_mov_b32_e32 v11, v12
	v_mov_b32_e32 v0, v13
	v_pk_fma_f32 v[12:13], v[6:7], v[2:3], v[14:15] neg_lo:[1,0,0] neg_hi:[1,0,0]
	v_pk_fma_f32 v[14:15], v[6:7], v[2:3], v[14:15] op_sel_hi:[0,1,1]
	v_pk_add_f32 v[0:1], v[10:11], v[0:1] neg_lo:[0,1] neg_hi:[0,1]
	v_mov_b32_e32 v13, v15
	v_pk_fma_f32 v[0:1], v[6:7], v[2:3], v[0:1] op_sel_hi:[0,1,1]
	ds_write_b64 v44, v[12:13] offset:1848
	ds_write_b64 v4, v[0:1] offset:9240
	ds_read_b64 v[0:1], v4 offset:7392
	ds_read_b64 v[2:3], v44 offset:3696
	v_lshl_add_u32 v6, v36, 4, 0
	v_add_u32_e32 v22, 0x1ce0, v6
	s_waitcnt lgkmcnt(0)
	v_pk_add_f32 v[6:7], v[2:3], v[0:1]
	v_pk_add_f32 v[0:1], v[2:3], v[0:1] neg_lo:[0,1] neg_hi:[0,1]
	v_mov_b32_e32 v2, v7
	v_mov_b32_e32 v3, v0
	;; [unrolled: 1-line block ×3, first 2 shown]
	s_waitcnt vmcnt(0)
	v_pk_mul_f32 v[10:11], v[2:3], v[8:9] op_sel:[0,1]
	s_nop 0
	v_pk_add_f32 v[12:13], v[6:7], v[10:11] op_sel:[0,1] op_sel_hi:[1,0]
	v_mov_b32_e32 v7, v10
	v_mov_b32_e32 v0, v11
	v_pk_fma_f32 v[10:11], v[8:9], v[2:3], v[12:13] neg_lo:[1,0,0] neg_hi:[1,0,0]
	v_pk_fma_f32 v[12:13], v[8:9], v[2:3], v[12:13] op_sel_hi:[0,1,1]
	v_pk_add_f32 v[0:1], v[6:7], v[0:1] neg_lo:[0,1] neg_hi:[0,1]
	v_mov_b32_e32 v11, v13
	v_pk_fma_f32 v[0:1], v[8:9], v[2:3], v[0:1] op_sel_hi:[0,1,1]
	ds_write_b64 v44, v[10:11] offset:3696
	ds_write_b64 v4, v[0:1] offset:7392
	s_waitcnt lgkmcnt(0)
	s_barrier
	s_barrier
	ds_read2_b64 v[12:15], v44 offset1:231
	ds_read2_b64 v[8:11], v5 offset0:14 offset1:245
	ds_read2_b64 v[16:19], v16 offset0:12 offset1:243
	s_waitcnt lgkmcnt(0)
	s_barrier
	v_pk_add_f32 v[2:3], v[12:13], v[10:11] neg_lo:[0,1] neg_hi:[0,1]
	v_pk_add_f32 v[6:7], v[14:15], v[16:17] neg_lo:[0,1] neg_hi:[0,1]
	;; [unrolled: 1-line block ×3, first 2 shown]
	v_pk_fma_f32 v[0:1], v[12:13], 2.0, v[2:3] op_sel_hi:[1,0,1] neg_lo:[0,0,1] neg_hi:[0,0,1]
	v_pk_fma_f32 v[4:5], v[14:15], 2.0, v[6:7] op_sel_hi:[1,0,1] neg_lo:[0,0,1] neg_hi:[0,0,1]
	;; [unrolled: 1-line block ×3, first 2 shown]
	ds_write2_b64 v20, v[0:1], v[2:3] offset1:1
	ds_write2_b64 v21, v[4:5], v[6:7] offset1:1
	;; [unrolled: 1-line block ×3, first 2 shown]
	s_waitcnt lgkmcnt(0)
	s_barrier
	s_waitcnt lgkmcnt(0)
                                        ; implicit-def: $vgpr12
                                        ; implicit-def: $vgpr14
	s_and_saveexec_b64 s[4:5], vcc
	s_cbranch_execz .LBB0_21
; %bb.20:
	v_add_u32_e32 v4, 0xc00, v44
	v_add_u32_e32 v8, 0x1800, v44
	ds_read2_b64 v[0:3], v44 offset1:198
	ds_read2_b64 v[4:7], v4 offset0:12 offset1:210
	ds_read_b64 v[14:15], v44 offset:9504
	ds_read2_b64 v[8:11], v8 offset0:24 offset1:222
	s_waitcnt lgkmcnt(1)
	v_mov_b32_e32 v12, v15
.LBB0_21:
	s_or_b64 exec, exec, s[4:5]
	v_and_b32_e32 v29, 1, v36
	v_mul_u32_u24_e32 v13, 6, v29
	v_lshlrev_b32_e32 v13, 3, v13
	global_load_dwordx4 v[16:19], v13, s[8:9] offset:16
	global_load_dwordx4 v[20:23], v13, s[8:9]
	global_load_dwordx4 v[24:27], v13, s[8:9] offset:32
	v_mov_b32_e32 v30, v3
	v_mov_b32_e32 v38, v3
	;; [unrolled: 1-line block ×4, first 2 shown]
	s_waitcnt lgkmcnt(0)
	v_mov_b32_e32 v46, v11
	v_mov_b32_e32 v48, v11
	s_mov_b32 s10, 0xbeae86e6
	s_mov_b32 s16, 0x3d64c772
	;; [unrolled: 1-line block ×10, first 2 shown]
	s_barrier
	s_waitcnt vmcnt(2)
	v_mul_f32_e32 v50, v6, v16
	v_mul_f32_e32 v6, v6, v17
	v_mul_f32_e32 v54, v8, v18
	v_mul_f32_e32 v8, v8, v19
	s_waitcnt vmcnt(1)
	v_pk_mul_f32 v[2:3], v[2:3], v[20:21] op_sel_hi:[0,1]
	v_pk_mul_f32 v[4:5], v[4:5], v[22:23] op_sel_hi:[0,1]
	s_waitcnt vmcnt(0)
	v_pk_mul_f32 v[10:11], v[10:11], v[24:25] op_sel_hi:[0,1]
	v_pk_mul_f32 v[14:15], v[14:15], v[26:27] op_sel_hi:[0,1]
	v_mul_f32_e32 v52, v7, v17
	v_mul_f32_e32 v56, v9, v19
	v_fma_f32 v16, v7, v16, -v6
	v_fma_f32 v18, v9, v18, -v8
	v_pk_fma_f32 v[6:7], v[30:31], v[20:21], v[2:3] op_sel:[0,0,1] op_sel_hi:[1,1,0] neg_lo:[0,0,1] neg_hi:[0,0,1]
	v_pk_fma_f32 v[2:3], v[38:39], v[20:21], v[2:3] op_sel:[0,0,1] op_sel_hi:[0,1,0]
	v_pk_fma_f32 v[20:21], v[40:41], v[22:23], v[4:5] op_sel:[0,0,1] op_sel_hi:[1,1,0] neg_lo:[0,0,1] neg_hi:[0,0,1]
	v_pk_fma_f32 v[4:5], v[42:43], v[22:23], v[4:5] op_sel:[0,0,1] op_sel_hi:[0,1,0]
	;; [unrolled: 2-line block ×4, first 2 shown]
	v_mov_b32_e32 v7, v3
	v_mov_b32_e32 v21, v5
	;; [unrolled: 1-line block ×8, first 2 shown]
	v_pk_add_f32 v[8:9], v[6:7], v[10:11]
	v_pk_add_f32 v[2:3], v[6:7], v[10:11] neg_lo:[0,1] neg_hi:[0,1]
	v_pk_add_f32 v[14:15], v[20:21], v[22:23]
	v_pk_add_f32 v[10:11], v[54:55], v[56:57]
	;; [unrolled: 1-line block ×3, first 2 shown]
	v_mov_b32_e32 v5, v16
	v_mov_b32_e32 v25, v18
	;; [unrolled: 1-line block ×6, first 2 shown]
	v_pk_add_f32 v[6:7], v[20:21], v[22:23] neg_lo:[0,1] neg_hi:[0,1]
	v_pk_add_f32 v[20:21], v[12:13], v[10:11]
	v_pk_add_f32 v[16:17], v[18:19], v[16:17] neg_lo:[0,1] neg_hi:[0,1]
	v_pk_add_f32 v[4:5], v[4:5], v[24:25]
	v_mov_b32_e32 v22, v15
	v_mov_b32_e32 v41, v3
	;; [unrolled: 1-line block ×4, first 2 shown]
	v_pk_add_f32 v[18:19], v[16:17], v[6:7]
	v_mov_b32_e32 v38, v16
	v_mov_b32_e32 v40, v16
	;; [unrolled: 1-line block ×9, first 2 shown]
	v_pk_add_f32 v[4:5], v[4:5], v[20:21]
	v_pk_add_f32 v[42:43], v[10:11], v[22:23] neg_lo:[0,1] neg_hi:[0,1]
	v_pk_add_f32 v[16:17], v[40:41], v[16:17] neg_lo:[0,1] neg_hi:[0,1]
	;; [unrolled: 1-line block ×4, first 2 shown]
	v_pk_add_f32 v[26:27], v[18:19], v[2:3]
	v_pk_add_f32 v[20:21], v[0:1], v[4:5]
	v_pk_mul_f32 v[0:1], v[42:43], s[16:17]
	v_pk_mul_f32 v[18:19], v[16:17], s[18:19]
	v_pk_fma_f32 v[16:17], v[4:5], s[14:15], v[20:21] op_sel_hi:[1,0,1]
	v_pk_fma_f32 v[4:5], v[24:25], s[12:13], v[0:1]
	v_pk_fma_f32 v[30:31], v[22:23], s[10:11], v[18:19]
	v_pk_add_f32 v[4:5], v[4:5], v[16:17]
	v_pk_fma_f32 v[30:31], v[26:27], s[4:5], v[30:31] op_sel_hi:[1,0,1]
	s_nop 0
	v_pk_add_f32 v[38:39], v[4:5], v[30:31] neg_lo:[0,1] neg_hi:[0,1]
	v_pk_add_f32 v[4:5], v[4:5], v[30:31]
	s_and_saveexec_b64 s[14:15], vcc
	s_cbranch_execz .LBB0_23
; %bb.22:
	v_lshrrev_b32_e32 v8, 1, v36
	v_mul_u32_u24_e32 v8, 14, v8
	v_or_b32_e32 v8, v8, v29
	v_pk_mul_f32 v[24:25], v[24:25], s[12:13]
	v_pk_mul_f32 v[22:23], v[22:23], s[10:11]
	v_lshl_add_u32 v14, v8, 3, 0
	v_mov_b32_e32 v30, v4
	v_mov_b32_e32 v31, v39
	;; [unrolled: 1-line block ×4, first 2 shown]
	v_pk_mul_f32 v[26:27], v[26:27], s[4:5] op_sel_hi:[1,0]
	ds_write2_b64 v14, v[20:21], v[30:31] offset1:2
	v_mov_b32_e32 v20, v24
	v_mov_b32_e32 v21, v1
	v_pk_add_f32 v[8:9], v[12:13], v[10:11] neg_lo:[0,1] neg_hi:[0,1]
	s_mov_b32 s4, 0x3f3bfb3b
	v_pk_add_f32 v[2:3], v[6:7], v[2:3] neg_lo:[0,1] neg_hi:[0,1]
	s_mov_b32 s10, 0xbf5ff5aa
	v_mov_b32_e32 v6, v22
	v_mov_b32_e32 v7, v19
	;; [unrolled: 1-line block ×4, first 2 shown]
	v_pk_fma_f32 v[10:11], v[8:9], s[4:5], v[20:21] op_sel_hi:[1,0,1] neg_lo:[1,0,1] neg_hi:[1,0,1]
	v_pk_fma_f32 v[6:7], v[2:3], s[10:11], v[6:7] op_sel_hi:[1,0,1] neg_lo:[1,0,1] neg_hi:[1,0,1]
	;; [unrolled: 1-line block ×4, first 2 shown]
	v_pk_add_f32 v[10:11], v[10:11], v[16:17]
	v_pk_add_f32 v[6:7], v[26:27], v[6:7]
	;; [unrolled: 1-line block ×5, first 2 shown]
	v_pk_add_f32 v[6:7], v[10:11], v[6:7] neg_lo:[0,1] neg_hi:[0,1]
	v_pk_add_f32 v[8:9], v[0:1], v[2:3] neg_lo:[0,1] neg_hi:[0,1]
	v_pk_add_f32 v[0:1], v[0:1], v[2:3]
	v_mov_b32_e32 v10, v12
	v_mov_b32_e32 v11, v7
	;; [unrolled: 1-line block ×7, first 2 shown]
	ds_write2_b64 v14, v[10:11], v[2:3] offset0:4 offset1:6
	ds_write2_b64 v14, v[0:1], v[6:7] offset0:8 offset1:10
	ds_write_b64 v14, v[38:39] offset:96
.LBB0_23:
	s_or_b64 exec, exec, s[14:15]
	v_lshrrev_b16_e32 v0, 1, v36
	v_and_b32_e32 v20, 0x7f, v0
	v_lshrrev_b16_e32 v0, 1, v28
	v_mul_u32_u24_e32 v0, 0x4925, v0
	v_mul_lo_u16_e32 v4, 0x93, v20
	v_lshrrev_b32_e32 v21, 17, v0
	v_mul_lo_u16_e32 v0, 14, v21
	v_lshrrev_b16_e32 v4, 10, v4
	v_sub_u16_e32 v24, v28, v0
	v_mul_lo_u16_e32 v6, 14, v4
	v_lshlrev_b32_e32 v0, 4, v24
	v_sub_u16_e32 v25, v36, v6
	v_mov_b32_e32 v6, 4
	s_waitcnt lgkmcnt(0)
	s_barrier
	global_load_dwordx4 v[0:3], v0, s[8:9] offset:96
	v_lshlrev_b32_sdwa v6, v6, v25 dst_sel:DWORD dst_unused:UNUSED_PAD src0_sel:DWORD src1_sel:BYTE_0
	global_load_dwordx4 v[6:9], v6, s[8:9] offset:96
	v_add_u32_e32 v12, 0x700, v44
	v_add_u32_e32 v16, 0x1500, v44
	ds_read2_b32 v[22:23], v44 offset1:1
	ds_read_b64 v[10:11], v44 offset:9240
	ds_read2_b64 v[12:15], v12 offset0:7 offset1:238
	ds_read2_b64 v[16:19], v16 offset0:21 offset1:252
	v_mov_b32_e32 v26, 3
	v_mul_u32_u24_e32 v21, 0x150, v21
	v_mul_u32_u24_e32 v4, 0x150, v4
	v_lshlrev_b32_e32 v24, 3, v24
	v_lshlrev_b32_sdwa v25, v26, v25 dst_sel:DWORD dst_unused:UNUSED_PAD src0_sel:DWORD src1_sel:BYTE_0
	v_add3_u32 v21, 0, v21, v24
	v_add3_u32 v4, 0, v4, v25
	s_mov_b32 s4, 0x3f5db3d7
	s_movk_i32 s5, 0x7e
	v_cmp_gt_u32_e32 vcc, s5, v36
	s_waitcnt lgkmcnt(0)
	s_barrier
	s_waitcnt lgkmcnt(0)
                                        ; implicit-def: $vgpr42
	s_waitcnt vmcnt(1)
	v_pk_mul_f32 v[24:25], v[0:1], v[16:17] op_sel:[0,1]
	v_pk_mul_f32 v[26:27], v[2:3], v[10:11] op_sel:[0,1]
	v_pk_fma_f32 v[30:31], v[0:1], v[16:17], v[24:25] op_sel:[0,0,1] op_sel_hi:[1,1,0]
	v_pk_fma_f32 v[0:1], v[0:1], v[16:17], v[24:25] op_sel:[0,0,1] op_sel_hi:[1,0,0] neg_lo:[1,0,0] neg_hi:[1,0,0]
	v_pk_fma_f32 v[16:17], v[2:3], v[10:11], v[26:27] op_sel:[0,0,1] op_sel_hi:[1,1,0]
	v_pk_fma_f32 v[2:3], v[2:3], v[10:11], v[26:27] op_sel:[0,0,1] op_sel_hi:[1,0,0] neg_lo:[1,0,0] neg_hi:[1,0,0]
	s_waitcnt vmcnt(0)
	v_pk_mul_f32 v[10:11], v[6:7], v[14:15] op_sel:[0,1]
	v_pk_mul_f32 v[24:25], v[8:9], v[18:19] op_sel:[0,1]
	v_mov_b32_e32 v31, v1
	v_mov_b32_e32 v17, v3
	v_pk_fma_f32 v[0:1], v[6:7], v[14:15], v[10:11] op_sel:[0,0,1] op_sel_hi:[1,1,0]
	v_pk_fma_f32 v[2:3], v[6:7], v[14:15], v[10:11] op_sel:[0,0,1] op_sel_hi:[1,0,0] neg_lo:[1,0,0] neg_hi:[1,0,0]
	v_pk_fma_f32 v[6:7], v[8:9], v[18:19], v[24:25] op_sel:[0,0,1] op_sel_hi:[1,1,0]
	v_pk_fma_f32 v[8:9], v[8:9], v[18:19], v[24:25] op_sel:[0,0,1] op_sel_hi:[1,0,0] neg_lo:[1,0,0] neg_hi:[1,0,0]
	v_pk_add_f32 v[10:11], v[12:13], v[30:31]
	v_mov_b32_e32 v1, v3
	v_mov_b32_e32 v7, v9
	v_pk_add_f32 v[2:3], v[30:31], v[16:17]
	v_pk_add_f32 v[8:9], v[30:31], v[16:17] neg_lo:[0,1] neg_hi:[0,1]
	v_pk_add_f32 v[10:11], v[10:11], v[16:17]
	v_pk_add_f32 v[14:15], v[0:1], v[22:23]
	;; [unrolled: 1-line block ×3, first 2 shown]
	v_pk_add_f32 v[18:19], v[0:1], v[6:7] neg_lo:[0,1] neg_hi:[0,1]
	v_pk_fma_f32 v[2:3], v[2:3], 0.5, v[12:13] op_sel_hi:[1,0,1] neg_lo:[1,0,0] neg_hi:[1,0,0]
	v_pk_mul_f32 v[8:9], v[8:9], s[4:5] op_sel_hi:[1,0]
	v_pk_add_f32 v[0:1], v[14:15], v[6:7]
	v_pk_fma_f32 v[6:7], v[16:17], 0.5, v[22:23] op_sel_hi:[1,0,1] neg_lo:[1,0,0] neg_hi:[1,0,0]
	v_pk_mul_f32 v[12:13], v[18:19], s[4:5] op_sel_hi:[1,0]
	v_pk_add_f32 v[14:15], v[2:3], v[8:9] op_sel:[0,1] op_sel_hi:[1,0] neg_lo:[0,1] neg_hi:[0,1]
	v_pk_add_f32 v[40:41], v[2:3], v[8:9] op_sel:[0,1] op_sel_hi:[1,0]
	v_pk_add_f32 v[8:9], v[6:7], v[12:13] op_sel:[0,1] op_sel_hi:[1,0] neg_lo:[0,1] neg_hi:[0,1]
	v_pk_add_f32 v[12:13], v[6:7], v[12:13] op_sel:[0,1] op_sel_hi:[1,0]
	v_mov_b32_e32 v6, v40
	v_mov_b32_e32 v7, v15
	;; [unrolled: 1-line block ×8, first 2 shown]
	ds_write2_b64 v4, v[0:1], v[16:17] offset1:14
	ds_write_b64 v4, v[18:19] offset:224
	ds_write2_b64 v21, v[10:11], v[2:3] offset1:14
	ds_write_b64 v21, v[6:7] offset:224
	s_waitcnt lgkmcnt(0)
	s_barrier
	s_waitcnt lgkmcnt(0)
                                        ; implicit-def: $vgpr18
	s_and_saveexec_b64 s[4:5], vcc
	s_cbranch_execz .LBB0_25
; %bb.24:
	v_add_u32_e32 v4, 0x400, v44
	ds_read2_b64 v[8:11], v4 offset0:124 offset1:250
	v_add_u32_e32 v12, 0xc00, v44
	v_add_u32_e32 v4, 0x1400, v44
	ds_read2_b64 v[0:3], v44 offset1:126
	ds_read2_b64 v[4:7], v4 offset0:116 offset1:242
	ds_read2_b64 v[12:15], v12 offset0:120 offset1:246
	v_add_u32_e32 v16, 0x1c00, v44
	ds_read2_b64 v[16:19], v16 offset0:112 offset1:238
	ds_read_b64 v[42:43], v44 offset:10080
	s_waitcnt lgkmcnt(3)
	v_mov_b32_e32 v38, v4
	s_waitcnt lgkmcnt(2)
	v_mov_b32_e32 v40, v14
	v_mov_b32_e32 v41, v13
	;; [unrolled: 1-line block ×6, first 2 shown]
.LBB0_25:
	s_or_b64 exec, exec, s[4:5]
	v_lshlrev_b32_e32 v2, 1, v28
	s_waitcnt lgkmcnt(0)
	s_barrier
	s_and_saveexec_b64 s[4:5], vcc
	s_cbranch_execz .LBB0_27
; %bb.26:
	v_mul_lo_u16_e32 v3, 49, v20
	v_lshrrev_b16_e32 v3, 10, v3
	v_mul_lo_u16_e32 v4, 42, v3
	v_sub_u16_e32 v37, v36, v4
	v_mov_b32_e32 v4, 10
	v_mul_u32_u24_sdwa v4, v37, v4 dst_sel:DWORD dst_unused:UNUSED_PAD src0_sel:BYTE_0 src1_sel:DWORD
	v_lshlrev_b32_e32 v4, 3, v4
	global_load_dwordx4 v[20:23], v4, s[8:9] offset:320
	global_load_dwordx4 v[28:31], v4, s[8:9] offset:384
	;; [unrolled: 1-line block ×5, first 2 shown]
	v_mov_b32_e32 v4, v43
	v_mov_b32_e32 v54, v19
	;; [unrolled: 1-line block ×11, first 2 shown]
	s_mov_b32 s20, 0xbe903f40
	s_mov_b32 s18, 0xbf75a155
	;; [unrolled: 1-line block ×12, first 2 shown]
	v_mul_u32_u24_e32 v3, 0xe70, v3
	s_mov_b32 s36, 0xbf68dda4
	s_waitcnt vmcnt(4)
	v_mov_b32_e32 v74, v23
	v_mov_b32_e32 v75, v22
	v_pk_mul_f32 v[12:13], v[12:13], v[22:23] op_sel_hi:[0,1]
	s_waitcnt vmcnt(3)
	v_pk_mul_f32 v[4:5], v[4:5], v[30:31] op_sel_hi:[0,1]
	v_pk_mul_f32 v[22:23], v[54:55], v[28:29] op_sel_hi:[0,1]
	s_waitcnt vmcnt(2)
	v_pk_mul_f32 v[54:55], v[60:61], v[26:27] op_sel_hi:[0,1]
	s_waitcnt vmcnt(1)
	v_pk_mul_f32 v[60:61], v[64:65], v[48:49] op_sel_hi:[0,1]
	v_pk_mul_f32 v[64:65], v[66:67], v[24:25] op_sel_hi:[0,1]
	;; [unrolled: 1-line block ×3, first 2 shown]
	v_pk_fma_f32 v[56:57], v[56:57], v[74:75], v[12:13]
	v_pk_fma_f32 v[12:13], v[58:59], v[74:75], v[12:13] op_sel_hi:[0,1,1] neg_lo:[0,0,1] neg_hi:[0,0,1]
	v_pk_fma_f32 v[58:59], v[42:43], v[30:31], v[4:5] op_sel:[0,0,1] op_sel_hi:[1,1,0]
	v_pk_fma_f32 v[4:5], v[42:43], v[30:31], v[4:5] op_sel:[0,0,1] op_sel_hi:[0,1,0] neg_lo:[1,0,0] neg_hi:[1,0,0]
	v_pk_fma_f32 v[30:31], v[18:19], v[28:29], v[22:23] op_sel:[0,0,1] op_sel_hi:[1,1,0]
	v_pk_fma_f32 v[18:19], v[18:19], v[28:29], v[22:23] op_sel:[0,0,1] op_sel_hi:[0,1,0] neg_lo:[1,0,0] neg_hi:[1,0,0]
	;; [unrolled: 2-line block ×5, first 2 shown]
	v_pk_mul_f32 v[62:63], v[62:63], v[46:47] op_sel_hi:[0,1]
	v_pk_fma_f32 v[42:43], v[6:7], v[24:25], v[64:65] op_sel:[0,0,1] op_sel_hi:[1,1,0]
	v_pk_fma_f32 v[6:7], v[6:7], v[24:25], v[64:65] op_sel:[0,0,1] op_sel_hi:[0,1,0] neg_lo:[1,0,0] neg_hi:[1,0,0]
	v_mov_b32_e32 v59, v5
	v_mov_b32_e32 v49, v9
	s_waitcnt vmcnt(0)
	v_pk_mul_f32 v[68:69], v[68:69], v[52:53] op_sel_hi:[0,1]
	v_pk_fma_f32 v[28:29], v[10:11], v[46:47], v[62:63] op_sel:[0,0,1] op_sel_hi:[1,1,0]
	v_pk_fma_f32 v[10:11], v[10:11], v[46:47], v[62:63] op_sel:[0,0,1] op_sel_hi:[0,1,0] neg_lo:[1,0,0] neg_hi:[1,0,0]
	v_mov_b32_e32 v57, v13
	v_mov_b32_e32 v31, v19
	;; [unrolled: 1-line block ×3, first 2 shown]
	v_pk_add_f32 v[6:7], v[48:49], v[58:59] neg_lo:[0,1] neg_hi:[0,1]
	v_pk_mul_f32 v[70:71], v[72:73], v[50:51] op_sel_hi:[0,1]
	v_pk_fma_f32 v[46:47], v[38:39], v[52:53], v[68:69] op_sel:[0,0,1] op_sel_hi:[1,1,0]
	v_pk_fma_f32 v[38:39], v[38:39], v[52:53], v[68:69] op_sel:[0,0,1] op_sel_hi:[0,1,0] neg_lo:[1,0,0] neg_hi:[1,0,0]
	v_mov_b32_e32 v29, v11
	v_mov_b32_e32 v23, v17
	v_pk_add_f32 v[4:5], v[48:49], v[58:59]
	v_pk_add_f32 v[10:11], v[56:57], v[30:31] neg_lo:[0,1] neg_hi:[0,1]
	v_pk_mul_f32 v[20:21], v[6:7], s[20:21] op_sel_hi:[1,0]
	v_pk_fma_f32 v[24:25], v[40:41], v[50:51], v[70:71] op_sel:[0,0,1] op_sel_hi:[1,1,0]
	v_pk_fma_f32 v[40:41], v[40:41], v[50:51], v[70:71] op_sel:[0,0,1] op_sel_hi:[0,1,0] neg_lo:[1,0,0] neg_hi:[1,0,0]
	v_mov_b32_e32 v27, v15
	v_mov_b32_e32 v47, v39
	v_pk_add_f32 v[8:9], v[56:57], v[30:31]
	v_pk_add_f32 v[14:15], v[28:29], v[22:23] neg_lo:[0,1] neg_hi:[0,1]
	v_pk_mul_f32 v[38:39], v[10:11], s[22:23] op_sel_hi:[1,0]
	v_pk_fma_f32 v[50:51], v[4:5], s[18:19], v[20:21] op_sel:[0,0,1] op_sel_hi:[1,0,0]
	v_pk_fma_f32 v[20:21], v[4:5], s[18:19], v[20:21] op_sel:[0,0,1] op_sel_hi:[1,0,0] neg_lo:[0,0,1] neg_hi:[0,0,1]
	v_mov_b32_e32 v25, v41
	v_pk_add_f32 v[12:13], v[28:29], v[22:23]
	v_pk_mul_f32 v[40:41], v[14:15], s[16:17] op_sel_hi:[1,0]
	v_pk_fma_f32 v[52:53], v[8:9], s[10:11], v[38:39] op_sel:[0,0,1] op_sel_hi:[1,0,0]
	v_pk_fma_f32 v[38:39], v[8:9], s[10:11], v[38:39] op_sel:[0,0,1] op_sel_hi:[1,0,0] neg_lo:[0,0,1] neg_hi:[0,0,1]
	v_mov_b32_e32 v61, v21
	v_mov_b32_e32 v21, v51
	v_pk_fma_f32 v[54:55], v[12:13], s[14:15], v[40:41] op_sel:[0,0,1] op_sel_hi:[1,0,0]
	v_pk_fma_f32 v[40:41], v[12:13], s[14:15], v[40:41] op_sel:[0,0,1] op_sel_hi:[1,0,0] neg_lo:[0,0,1] neg_hi:[0,0,1]
	v_mov_b32_e32 v63, v39
	v_pk_add_f32 v[20:21], v[0:1], v[20:21]
	v_mov_b32_e32 v39, v53
	v_pk_add_f32 v[18:19], v[26:27], v[42:43] neg_lo:[0,1] neg_hi:[0,1]
	v_pk_add_f32 v[20:21], v[38:39], v[20:21]
	v_mov_b32_e32 v39, v41
	v_mov_b32_e32 v41, v55
	v_pk_add_f32 v[16:17], v[26:27], v[42:43]
	v_pk_add_f32 v[20:21], v[40:41], v[20:21]
	v_pk_mul_f32 v[40:41], v[18:19], s[24:25] op_sel_hi:[1,0]
	v_pk_add_f32 v[66:67], v[24:25], v[46:47] neg_lo:[0,1] neg_hi:[0,1]
	v_pk_fma_f32 v[64:65], v[16:17], s[12:13], v[40:41] op_sel:[0,0,1] op_sel_hi:[1,0,0]
	v_pk_fma_f32 v[40:41], v[16:17], s[12:13], v[40:41] op_sel:[0,0,1] op_sel_hi:[1,0,0] neg_lo:[0,0,1] neg_hi:[0,0,1]
	v_pk_mul_f32 v[68:69], v[66:67], s[28:29] op_sel_hi:[1,0]
	v_mov_b32_e32 v51, v41
	v_mov_b32_e32 v41, v65
	v_pk_add_f32 v[20:21], v[40:41], v[20:21]
	v_pk_add_f32 v[40:41], v[24:25], v[46:47]
	v_pk_mul_f32 v[74:75], v[10:11], s[34:35] op_sel_hi:[1,0]
	v_pk_fma_f32 v[70:71], v[40:41], s[26:27], v[68:69] op_sel:[0,0,1] op_sel_hi:[1,0,0]
	v_pk_fma_f32 v[68:69], v[40:41], s[26:27], v[68:69] op_sel:[0,0,1] op_sel_hi:[1,0,0] neg_lo:[0,0,1] neg_hi:[0,0,1]
	v_pk_fma_f32 v[76:77], v[8:9], s[26:27], v[74:75] op_sel:[0,0,1] op_sel_hi:[1,0,0]
	v_mov_b32_e32 v53, v69
	v_mov_b32_e32 v69, v71
	v_pk_add_f32 v[20:21], v[68:69], v[20:21]
	v_pk_mul_f32 v[68:69], v[6:7], s[16:17] op_sel_hi:[1,0]
	v_pk_fma_f32 v[74:75], v[8:9], s[26:27], v[74:75] op_sel:[0,0,1] op_sel_hi:[1,0,0] neg_lo:[0,0,1] neg_hi:[0,0,1]
	v_pk_fma_f32 v[72:73], v[4:5], s[14:15], v[68:69] op_sel:[0,0,1] op_sel_hi:[1,0,0]
	v_pk_fma_f32 v[68:69], v[4:5], s[14:15], v[68:69] op_sel:[0,0,1] op_sel_hi:[1,0,0] neg_lo:[0,0,1] neg_hi:[0,0,1]
	v_mov_b32_e32 v38, 3
	v_mov_b32_e32 v79, v69
	v_mov_b32_e32 v69, v73
	v_pk_add_f32 v[68:69], v[0:1], v[68:69]
	v_mov_b32_e32 v73, v75
	v_mov_b32_e32 v75, v77
	v_pk_add_f32 v[68:69], v[74:75], v[68:69]
	v_pk_mul_f32 v[74:75], v[14:15], s[30:31] op_sel_hi:[1,0]
	v_lshlrev_b32_sdwa v37, v38, v37 dst_sel:DWORD dst_unused:UNUSED_PAD src0_sel:DWORD src1_sel:BYTE_0
	v_pk_fma_f32 v[80:81], v[12:13], s[10:11], v[74:75] op_sel:[0,0,1] op_sel_hi:[1,0,0]
	v_pk_fma_f32 v[74:75], v[12:13], s[10:11], v[74:75] op_sel:[0,0,1] op_sel_hi:[1,0,0] neg_lo:[0,0,1] neg_hi:[0,0,1]
	v_add3_u32 v3, 0, v3, v37
	v_mov_b32_e32 v77, v75
	v_mov_b32_e32 v75, v81
	v_pk_add_f32 v[68:69], v[74:75], v[68:69]
	v_pk_mul_f32 v[74:75], v[18:19], s[20:21] op_sel_hi:[1,0]
	v_add_u32_e32 v37, 0x400, v3
	v_pk_fma_f32 v[82:83], v[16:17], s[18:19], v[74:75] op_sel:[0,0,1] op_sel_hi:[1,0,0]
	v_pk_fma_f32 v[74:75], v[16:17], s[18:19], v[74:75] op_sel:[0,0,1] op_sel_hi:[1,0,0] neg_lo:[0,0,1] neg_hi:[0,0,1]
	v_pk_mul_f32 v[86:87], v[10:11], s[36:37] op_sel_hi:[1,0]
	v_mov_b32_e32 v81, v75
	v_mov_b32_e32 v75, v83
	v_pk_add_f32 v[68:69], v[74:75], v[68:69]
	v_pk_mul_f32 v[74:75], v[66:67], s[24:25] op_sel_hi:[1,0]
	v_pk_fma_f32 v[88:89], v[8:9], s[12:13], v[86:87] op_sel:[0,0,1] op_sel_hi:[1,0,0]
	v_pk_fma_f32 v[84:85], v[40:41], s[12:13], v[74:75] op_sel:[0,0,1] op_sel_hi:[1,0,0]
	v_pk_fma_f32 v[74:75], v[40:41], s[12:13], v[74:75] op_sel:[0,0,1] op_sel_hi:[1,0,0] neg_lo:[0,0,1] neg_hi:[0,0,1]
	v_pk_fma_f32 v[86:87], v[8:9], s[12:13], v[86:87] op_sel:[0,0,1] op_sel_hi:[1,0,0] neg_lo:[0,0,1] neg_hi:[0,0,1]
	v_mov_b32_e32 v83, v75
	v_mov_b32_e32 v75, v85
	v_pk_add_f32 v[68:69], v[74:75], v[68:69]
	ds_write2_b64 v37, v[20:21], v[68:69] offset0:124 offset1:166
	v_pk_mul_f32 v[20:21], v[6:7], s[30:31] op_sel_hi:[1,0]
	v_mov_b32_e32 v90, v88
	v_pk_fma_f32 v[68:69], v[4:5], s[10:11], v[20:21] op_sel:[0,0,1] op_sel_hi:[1,0,0]
	v_pk_fma_f32 v[20:21], v[4:5], s[10:11], v[20:21] op_sel:[0,0,1] op_sel_hi:[1,0,0] neg_lo:[0,0,1] neg_hi:[0,0,1]
	v_mov_b32_e32 v74, v68
	v_mov_b32_e32 v75, v21
	v_pk_add_f32 v[74:75], v[0:1], v[74:75]
	v_mov_b32_e32 v91, v87
	v_pk_add_f32 v[74:75], v[90:91], v[74:75]
	v_pk_mul_f32 v[90:91], v[14:15], s[28:29] op_sel_hi:[1,0]
	v_pk_add_f32 v[48:49], v[0:1], v[48:49]
	v_pk_fma_f32 v[92:93], v[12:13], s[26:27], v[90:91] op_sel:[0,0,1] op_sel_hi:[1,0,0]
	v_pk_fma_f32 v[90:91], v[12:13], s[26:27], v[90:91] op_sel:[0,0,1] op_sel_hi:[1,0,0] neg_lo:[0,0,1] neg_hi:[0,0,1]
	v_pk_add_f32 v[48:49], v[48:49], v[56:57]
	v_mov_b32_e32 v94, v92
	v_mov_b32_e32 v95, v91
	v_pk_add_f32 v[28:29], v[48:49], v[28:29]
	v_pk_add_f32 v[74:75], v[94:95], v[74:75]
	v_pk_mul_f32 v[94:95], v[18:19], s[16:17] op_sel_hi:[1,0]
	v_pk_add_f32 v[26:27], v[28:29], v[26:27]
	v_pk_fma_f32 v[96:97], v[16:17], s[14:15], v[94:95] op_sel:[0,0,1] op_sel_hi:[1,0,0]
	v_pk_fma_f32 v[94:95], v[16:17], s[14:15], v[94:95] op_sel:[0,0,1] op_sel_hi:[1,0,0] neg_lo:[0,0,1] neg_hi:[0,0,1]
	v_pk_add_f32 v[24:25], v[26:27], v[24:25]
	v_mov_b32_e32 v98, v96
	v_mov_b32_e32 v99, v95
	v_pk_add_f32 v[24:25], v[24:25], v[46:47]
	;; [unrolled: 9-line block ×3, first 2 shown]
	v_pk_add_f32 v[74:75], v[102:103], v[74:75]
	v_pk_add_f32 v[22:23], v[22:23], v[58:59]
	ds_write2_b64 v3, v[22:23], v[74:75] offset1:42
	v_pk_mul_f32 v[22:23], v[6:7], s[36:37] op_sel_hi:[1,0]
	v_pk_mul_f32 v[28:29], v[10:11], s[16:17] op_sel_hi:[1,0]
	v_pk_fma_f32 v[24:25], v[4:5], s[12:13], v[22:23] op_sel:[0,0,1] op_sel_hi:[1,0,0]
	v_pk_fma_f32 v[22:23], v[4:5], s[12:13], v[22:23] op_sel:[0,0,1] op_sel_hi:[1,0,0] neg_lo:[0,0,1] neg_hi:[0,0,1]
	v_mov_b32_e32 v26, v24
	v_mov_b32_e32 v27, v23
	v_pk_fma_f32 v[30:31], v[8:9], s[14:15], v[28:29] op_sel:[0,0,1] op_sel_hi:[1,0,0]
	v_pk_fma_f32 v[28:29], v[8:9], s[14:15], v[28:29] op_sel:[0,0,1] op_sel_hi:[1,0,0] neg_lo:[0,0,1] neg_hi:[0,0,1]
	v_pk_add_f32 v[26:27], v[0:1], v[26:27]
	v_mov_b32_e32 v42, v30
	v_mov_b32_e32 v43, v29
	s_mov_b32 s20, 0x3e903f40
	v_pk_add_f32 v[26:27], v[42:43], v[26:27]
	v_pk_mul_f32 v[42:43], v[14:15], s[20:21] op_sel_hi:[1,0]
	v_pk_mul_f32 v[6:7], v[6:7], s[28:29] op_sel_hi:[1,0]
	v_pk_fma_f32 v[46:47], v[12:13], s[18:19], v[42:43] op_sel:[0,0,1] op_sel_hi:[1,0,0]
	v_pk_fma_f32 v[42:43], v[12:13], s[18:19], v[42:43] op_sel:[0,0,1] op_sel_hi:[1,0,0] neg_lo:[0,0,1] neg_hi:[0,0,1]
	v_mov_b32_e32 v48, v46
	v_mov_b32_e32 v49, v43
	v_pk_add_f32 v[26:27], v[48:49], v[26:27]
	v_pk_mul_f32 v[48:49], v[18:19], s[34:35] op_sel_hi:[1,0]
	v_pk_mul_f32 v[14:15], v[14:15], s[24:25] op_sel_hi:[1,0]
	v_pk_fma_f32 v[56:57], v[16:17], s[26:27], v[48:49] op_sel:[0,0,1] op_sel_hi:[1,0,0]
	v_pk_fma_f32 v[48:49], v[16:17], s[26:27], v[48:49] op_sel:[0,0,1] op_sel_hi:[1,0,0] neg_lo:[0,0,1] neg_hi:[0,0,1]
	v_mov_b32_e32 v58, v56
	v_mov_b32_e32 v59, v49
	v_pk_add_f32 v[26:27], v[58:59], v[26:27]
	v_pk_mul_f32 v[58:59], v[66:67], s[22:23] op_sel_hi:[1,0]
	v_mov_b32_e32 v78, v72
	v_pk_fma_f32 v[74:75], v[40:41], s[10:11], v[58:59] op_sel:[0,0,1] op_sel_hi:[1,0,0]
	v_pk_fma_f32 v[58:59], v[40:41], s[10:11], v[58:59] op_sel:[0,0,1] op_sel_hi:[1,0,0] neg_lo:[0,0,1] neg_hi:[0,0,1]
	v_mov_b32_e32 v102, v74
	v_mov_b32_e32 v103, v59
	v_pk_add_f32 v[26:27], v[102:103], v[26:27]
	v_pk_fma_f32 v[102:103], v[4:5], s[26:27], v[6:7] op_sel:[0,0,1] op_sel_hi:[1,0,0]
	v_pk_fma_f32 v[4:5], v[4:5], s[26:27], v[6:7] op_sel:[0,0,1] op_sel_hi:[1,0,0] neg_lo:[0,0,1] neg_hi:[0,0,1]
	v_pk_mul_f32 v[6:7], v[10:11], s[20:21] op_sel_hi:[1,0]
	v_mov_b32_e32 v60, v50
	v_pk_fma_f32 v[10:11], v[8:9], s[18:19], v[6:7] op_sel:[0,0,1] op_sel_hi:[1,0,0]
	v_pk_fma_f32 v[6:7], v[8:9], s[18:19], v[6:7] op_sel:[0,0,1] op_sel_hi:[1,0,0] neg_lo:[0,0,1] neg_hi:[0,0,1]
	v_mov_b32_e32 v8, v102
	v_mov_b32_e32 v9, v5
	v_pk_add_f32 v[8:9], v[0:1], v[8:9]
	v_mov_b32_e32 v104, v10
	v_mov_b32_e32 v105, v7
	v_pk_add_f32 v[8:9], v[104:105], v[8:9]
	v_pk_fma_f32 v[104:105], v[12:13], s[12:13], v[14:15] op_sel:[0,0,1] op_sel_hi:[1,0,0]
	v_pk_fma_f32 v[12:13], v[12:13], s[12:13], v[14:15] op_sel:[0,0,1] op_sel_hi:[1,0,0] neg_lo:[0,0,1] neg_hi:[0,0,1]
	v_mov_b32_e32 v14, v104
	v_mov_b32_e32 v15, v13
	v_pk_add_f32 v[8:9], v[14:15], v[8:9]
	v_pk_mul_f32 v[14:15], v[18:19], s[30:31] op_sel_hi:[1,0]
	v_mov_b32_e32 v5, v103
	v_pk_fma_f32 v[18:19], v[16:17], s[10:11], v[14:15] op_sel:[0,0,1] op_sel_hi:[1,0,0]
	v_pk_fma_f32 v[14:15], v[16:17], s[10:11], v[14:15] op_sel:[0,0,1] op_sel_hi:[1,0,0] neg_lo:[0,0,1] neg_hi:[0,0,1]
	v_mov_b32_e32 v16, v18
	v_mov_b32_e32 v17, v15
	v_pk_add_f32 v[8:9], v[16:17], v[8:9]
	v_pk_mul_f32 v[16:17], v[66:67], s[16:17] op_sel_hi:[1,0]
	v_mov_b32_e32 v72, v76
	v_pk_fma_f32 v[66:67], v[40:41], s[14:15], v[16:17] op_sel:[0,0,1] op_sel_hi:[1,0,0]
	v_pk_fma_f32 v[16:17], v[40:41], s[14:15], v[16:17] op_sel:[0,0,1] op_sel_hi:[1,0,0] neg_lo:[0,0,1] neg_hi:[0,0,1]
	v_mov_b32_e32 v40, v66
	v_mov_b32_e32 v41, v17
	v_pk_add_f32 v[8:9], v[40:41], v[8:9]
	ds_write2_b64 v3, v[26:27], v[8:9] offset0:84 offset1:126
	v_pk_add_f32 v[8:9], v[0:1], v[78:79]
	v_mov_b32_e32 v62, v52
	v_pk_add_f32 v[26:27], v[0:1], v[60:61]
	v_mov_b32_e32 v7, v11
	;; [unrolled: 2-line block ×3, first 2 shown]
	v_mov_b32_e32 v21, v69
	v_pk_add_f32 v[8:9], v[72:73], v[8:9]
	v_mov_b32_e32 v76, v80
	v_pk_add_f32 v[26:27], v[62:63], v[26:27]
	;; [unrolled: 2-line block ×3, first 2 shown]
	v_pk_add_f32 v[6:7], v[0:1], v[22:23]
	v_mov_b32_e32 v29, v31
	v_pk_add_f32 v[0:1], v[0:1], v[20:21]
	v_mov_b32_e32 v87, v89
	v_pk_add_f32 v[8:9], v[76:77], v[8:9]
	v_mov_b32_e32 v80, v82
	v_pk_add_f32 v[26:27], v[38:39], v[26:27]
	v_mov_b32_e32 v50, v64
	v_mov_b32_e32 v13, v105
	v_pk_add_f32 v[6:7], v[28:29], v[6:7]
	v_mov_b32_e32 v43, v47
	v_pk_add_f32 v[0:1], v[86:87], v[0:1]
	;; [unrolled: 2-line block ×8, first 2 shown]
	v_pk_add_f32 v[26:27], v[52:53], v[26:27]
	v_pk_add_f32 v[4:5], v[14:15], v[4:5]
	v_mov_b32_e32 v17, v67
	v_pk_add_f32 v[6:7], v[48:49], v[6:7]
	v_mov_b32_e32 v59, v75
	;; [unrolled: 2-line block ×3, first 2 shown]
	ds_write2_b64 v3, v[8:9], v[26:27] offset0:168 offset1:210
	v_pk_add_f32 v[4:5], v[16:17], v[4:5]
	v_pk_add_f32 v[6:7], v[58:59], v[6:7]
	v_add_u32_e32 v8, 0x800, v3
	v_pk_add_f32 v[0:1], v[98:99], v[0:1]
	ds_write2_b64 v8, v[4:5], v[6:7] offset0:80 offset1:122
	ds_write_b64 v3, v[0:1] offset:3360
.LBB0_27:
	s_or_b64 exec, exec, s[4:5]
	v_lshlrev_b32_e32 v0, 1, v36
	v_mov_b32_e32 v1, 0
	v_lshl_add_u64 v[4:5], v[0:1], 3, s[8:9]
	v_mov_b32_e32 v3, v1
	s_waitcnt lgkmcnt(0)
	s_barrier
	global_load_dwordx4 v[4:7], v[4:5], off offset:3680
	v_lshl_add_u64 v[2:3], v[2:3], 3, s[8:9]
	global_load_dwordx4 v[8:11], v[2:3], off offset:3680
	v_add_u32_e32 v0, 0xe00, v44
	ds_read2_b64 v[12:15], v44 offset1:231
	v_add_u32_e32 v28, 0x1c80, v44
	ds_read2_b64 v[16:19], v0 offset0:14 offset1:245
	ds_read2_b64 v[20:23], v28 offset0:12 offset1:243
	s_mov_b32 s4, 0x3f5db3d7
	s_waitcnt lgkmcnt(0)
	s_barrier
	s_waitcnt vmcnt(1)
	v_pk_mul_f32 v[2:3], v[4:5], v[16:17] op_sel:[0,1]
	v_pk_mul_f32 v[24:25], v[6:7], v[20:21] op_sel:[0,1]
	v_pk_fma_f32 v[26:27], v[4:5], v[16:17], v[2:3] op_sel:[0,0,1] op_sel_hi:[1,1,0]
	v_pk_fma_f32 v[2:3], v[4:5], v[16:17], v[2:3] op_sel:[0,0,1] op_sel_hi:[1,0,0] neg_lo:[1,0,0] neg_hi:[1,0,0]
	v_pk_fma_f32 v[4:5], v[6:7], v[20:21], v[24:25] op_sel:[0,0,1] op_sel_hi:[1,1,0]
	v_pk_fma_f32 v[6:7], v[6:7], v[20:21], v[24:25] op_sel:[0,0,1] op_sel_hi:[1,0,0] neg_lo:[1,0,0] neg_hi:[1,0,0]
	s_waitcnt vmcnt(0)
	v_pk_mul_f32 v[16:17], v[8:9], v[18:19] op_sel:[0,1]
	v_pk_mul_f32 v[20:21], v[10:11], v[22:23] op_sel:[0,1]
	v_mov_b32_e32 v27, v3
	v_mov_b32_e32 v5, v7
	v_pk_fma_f32 v[2:3], v[8:9], v[18:19], v[16:17] op_sel:[0,0,1] op_sel_hi:[1,1,0]
	v_pk_fma_f32 v[6:7], v[8:9], v[18:19], v[16:17] op_sel:[0,0,1] op_sel_hi:[1,0,0] neg_lo:[1,0,0] neg_hi:[1,0,0]
	v_pk_fma_f32 v[8:9], v[10:11], v[22:23], v[20:21] op_sel:[0,0,1] op_sel_hi:[1,1,0]
	v_pk_fma_f32 v[10:11], v[10:11], v[22:23], v[20:21] op_sel:[0,0,1] op_sel_hi:[1,0,0] neg_lo:[1,0,0] neg_hi:[1,0,0]
	v_pk_add_f32 v[16:17], v[26:27], v[12:13]
	v_mov_b32_e32 v3, v7
	v_mov_b32_e32 v9, v11
	v_pk_add_f32 v[6:7], v[26:27], v[4:5]
	v_pk_add_f32 v[10:11], v[26:27], v[4:5] neg_lo:[0,1] neg_hi:[0,1]
	v_pk_add_f32 v[4:5], v[16:17], v[4:5]
	v_pk_add_f32 v[16:17], v[14:15], v[2:3]
	v_pk_fma_f32 v[6:7], v[6:7], 0.5, v[12:13] op_sel_hi:[1,0,1] neg_lo:[1,0,0] neg_hi:[1,0,0]
	v_pk_mul_f32 v[10:11], v[10:11], s[4:5] op_sel_hi:[1,0]
	v_pk_add_f32 v[12:13], v[2:3], v[8:9]
	v_pk_add_f32 v[2:3], v[2:3], v[8:9] neg_lo:[0,1] neg_hi:[0,1]
	v_pk_add_f32 v[8:9], v[16:17], v[8:9]
	v_pk_add_f32 v[16:17], v[6:7], v[10:11] op_sel:[0,1] op_sel_hi:[1,0] neg_lo:[0,1] neg_hi:[0,1]
	v_pk_add_f32 v[6:7], v[6:7], v[10:11] op_sel:[0,1] op_sel_hi:[1,0]
	v_pk_fma_f32 v[10:11], v[12:13], 0.5, v[14:15] op_sel_hi:[1,0,1] neg_lo:[1,0,0] neg_hi:[1,0,0]
	v_pk_mul_f32 v[2:3], v[2:3], s[4:5] op_sel_hi:[1,0]
	ds_write2_b64 v44, v[4:5], v[8:9] offset1:231
	v_pk_add_f32 v[4:5], v[10:11], v[2:3] op_sel:[0,1] op_sel_hi:[1,0] neg_lo:[0,1] neg_hi:[0,1]
	v_pk_add_f32 v[2:3], v[10:11], v[2:3] op_sel:[0,1] op_sel_hi:[1,0]
	v_mov_b32_e32 v12, v16
	v_mov_b32_e32 v13, v7
	;; [unrolled: 1-line block ×6, first 2 shown]
	ds_write2_b64 v0, v[12:13], v[8:9] offset0:14 offset1:245
	ds_write2_b64 v28, v[6:7], v[2:3] offset0:12 offset1:243
	s_waitcnt lgkmcnt(0)
	s_barrier
	s_and_saveexec_b64 s[4:5], s[0:1]
	s_cbranch_execz .LBB0_29
; %bb.28:
	v_mul_lo_u32 v0, s3, v34
	v_mul_lo_u32 v2, s2, v35
	v_mad_u64_u32 v[6:7], s[0:1], s2, v34, 0
	v_lshl_add_u32 v12, v36, 3, 0
	v_add3_u32 v7, v7, v2, v0
	ds_read2_b64 v[2:5], v12 offset1:231
	v_lshl_add_u64 v[6:7], v[6:7], 3, s[6:7]
	v_mov_b32_e32 v37, v1
	v_lshl_add_u64 v[10:11], v[32:33], 3, v[6:7]
	v_lshl_add_u64 v[6:7], v[36:37], 3, v[10:11]
	s_waitcnt lgkmcnt(0)
	global_store_dwordx2 v[6:7], v[2:3], off
	v_add_u32_e32 v2, 0xe00, v12
	ds_read2_b64 v[6:9], v2 offset0:14 offset1:245
	v_add_u32_e32 v0, 0xe7, v36
	v_lshl_add_u64 v[2:3], v[0:1], 3, v[10:11]
	v_add_u32_e32 v0, 0x1ce, v36
	global_store_dwordx2 v[2:3], v[4:5], off
	v_lshl_add_u64 v[2:3], v[0:1], 3, v[10:11]
	s_waitcnt lgkmcnt(0)
	global_store_dwordx2 v[2:3], v[6:7], off
	v_add_u32_e32 v2, 0x1c80, v12
	ds_read2_b64 v[2:5], v2 offset0:12 offset1:243
	v_add_u32_e32 v0, 0x2b5, v36
	v_lshl_add_u64 v[6:7], v[0:1], 3, v[10:11]
	v_add_u32_e32 v0, 0x39c, v36
	global_store_dwordx2 v[6:7], v[8:9], off
	v_lshl_add_u64 v[6:7], v[0:1], 3, v[10:11]
	v_add_u32_e32 v0, 0x483, v36
	v_lshl_add_u64 v[0:1], v[0:1], 3, v[10:11]
	s_waitcnt lgkmcnt(0)
	global_store_dwordx2 v[6:7], v[2:3], off
	global_store_dwordx2 v[0:1], v[4:5], off
.LBB0_29:
	s_endpgm
	.section	.rodata,"a",@progbits
	.p2align	6, 0x0
	.amdhsa_kernel fft_rtc_back_len1386_factors_2_7_3_11_3_wgs_231_tpt_231_halfLds_sp_op_CI_CI_unitstride_sbrr_C2R_dirReg
		.amdhsa_group_segment_fixed_size 0
		.amdhsa_private_segment_fixed_size 0
		.amdhsa_kernarg_size 104
		.amdhsa_user_sgpr_count 2
		.amdhsa_user_sgpr_dispatch_ptr 0
		.amdhsa_user_sgpr_queue_ptr 0
		.amdhsa_user_sgpr_kernarg_segment_ptr 1
		.amdhsa_user_sgpr_dispatch_id 0
		.amdhsa_user_sgpr_kernarg_preload_length 0
		.amdhsa_user_sgpr_kernarg_preload_offset 0
		.amdhsa_user_sgpr_private_segment_size 0
		.amdhsa_uses_dynamic_stack 0
		.amdhsa_enable_private_segment 0
		.amdhsa_system_sgpr_workgroup_id_x 1
		.amdhsa_system_sgpr_workgroup_id_y 0
		.amdhsa_system_sgpr_workgroup_id_z 0
		.amdhsa_system_sgpr_workgroup_info 0
		.amdhsa_system_vgpr_workitem_id 0
		.amdhsa_next_free_vgpr 106
		.amdhsa_next_free_sgpr 38
		.amdhsa_accum_offset 108
		.amdhsa_reserve_vcc 1
		.amdhsa_float_round_mode_32 0
		.amdhsa_float_round_mode_16_64 0
		.amdhsa_float_denorm_mode_32 3
		.amdhsa_float_denorm_mode_16_64 3
		.amdhsa_dx10_clamp 1
		.amdhsa_ieee_mode 1
		.amdhsa_fp16_overflow 0
		.amdhsa_tg_split 0
		.amdhsa_exception_fp_ieee_invalid_op 0
		.amdhsa_exception_fp_denorm_src 0
		.amdhsa_exception_fp_ieee_div_zero 0
		.amdhsa_exception_fp_ieee_overflow 0
		.amdhsa_exception_fp_ieee_underflow 0
		.amdhsa_exception_fp_ieee_inexact 0
		.amdhsa_exception_int_div_zero 0
	.end_amdhsa_kernel
	.text
.Lfunc_end0:
	.size	fft_rtc_back_len1386_factors_2_7_3_11_3_wgs_231_tpt_231_halfLds_sp_op_CI_CI_unitstride_sbrr_C2R_dirReg, .Lfunc_end0-fft_rtc_back_len1386_factors_2_7_3_11_3_wgs_231_tpt_231_halfLds_sp_op_CI_CI_unitstride_sbrr_C2R_dirReg
                                        ; -- End function
	.section	.AMDGPU.csdata,"",@progbits
; Kernel info:
; codeLenInByte = 6732
; NumSgprs: 44
; NumVgprs: 106
; NumAgprs: 0
; TotalNumVgprs: 106
; ScratchSize: 0
; MemoryBound: 0
; FloatMode: 240
; IeeeMode: 1
; LDSByteSize: 0 bytes/workgroup (compile time only)
; SGPRBlocks: 5
; VGPRBlocks: 13
; NumSGPRsForWavesPerEU: 44
; NumVGPRsForWavesPerEU: 106
; AccumOffset: 108
; Occupancy: 4
; WaveLimiterHint : 1
; COMPUTE_PGM_RSRC2:SCRATCH_EN: 0
; COMPUTE_PGM_RSRC2:USER_SGPR: 2
; COMPUTE_PGM_RSRC2:TRAP_HANDLER: 0
; COMPUTE_PGM_RSRC2:TGID_X_EN: 1
; COMPUTE_PGM_RSRC2:TGID_Y_EN: 0
; COMPUTE_PGM_RSRC2:TGID_Z_EN: 0
; COMPUTE_PGM_RSRC2:TIDIG_COMP_CNT: 0
; COMPUTE_PGM_RSRC3_GFX90A:ACCUM_OFFSET: 26
; COMPUTE_PGM_RSRC3_GFX90A:TG_SPLIT: 0
	.text
	.p2alignl 6, 3212836864
	.fill 256, 4, 3212836864
	.type	__hip_cuid_f90cf4eb676e707b,@object ; @__hip_cuid_f90cf4eb676e707b
	.section	.bss,"aw",@nobits
	.globl	__hip_cuid_f90cf4eb676e707b
__hip_cuid_f90cf4eb676e707b:
	.byte	0                               ; 0x0
	.size	__hip_cuid_f90cf4eb676e707b, 1

	.ident	"AMD clang version 19.0.0git (https://github.com/RadeonOpenCompute/llvm-project roc-6.4.0 25133 c7fe45cf4b819c5991fe208aaa96edf142730f1d)"
	.section	".note.GNU-stack","",@progbits
	.addrsig
	.addrsig_sym __hip_cuid_f90cf4eb676e707b
	.amdgpu_metadata
---
amdhsa.kernels:
  - .agpr_count:     0
    .args:
      - .actual_access:  read_only
        .address_space:  global
        .offset:         0
        .size:           8
        .value_kind:     global_buffer
      - .offset:         8
        .size:           8
        .value_kind:     by_value
      - .actual_access:  read_only
        .address_space:  global
        .offset:         16
        .size:           8
        .value_kind:     global_buffer
      - .actual_access:  read_only
        .address_space:  global
        .offset:         24
        .size:           8
        .value_kind:     global_buffer
      - .actual_access:  read_only
        .address_space:  global
        .offset:         32
        .size:           8
        .value_kind:     global_buffer
      - .offset:         40
        .size:           8
        .value_kind:     by_value
      - .actual_access:  read_only
        .address_space:  global
        .offset:         48
        .size:           8
        .value_kind:     global_buffer
      - .actual_access:  read_only
        .address_space:  global
        .offset:         56
        .size:           8
        .value_kind:     global_buffer
      - .offset:         64
        .size:           4
        .value_kind:     by_value
      - .actual_access:  read_only
        .address_space:  global
        .offset:         72
        .size:           8
        .value_kind:     global_buffer
      - .actual_access:  read_only
        .address_space:  global
        .offset:         80
        .size:           8
        .value_kind:     global_buffer
      - .actual_access:  read_only
        .address_space:  global
        .offset:         88
        .size:           8
        .value_kind:     global_buffer
      - .actual_access:  write_only
        .address_space:  global
        .offset:         96
        .size:           8
        .value_kind:     global_buffer
    .group_segment_fixed_size: 0
    .kernarg_segment_align: 8
    .kernarg_segment_size: 104
    .language:       OpenCL C
    .language_version:
      - 2
      - 0
    .max_flat_workgroup_size: 231
    .name:           fft_rtc_back_len1386_factors_2_7_3_11_3_wgs_231_tpt_231_halfLds_sp_op_CI_CI_unitstride_sbrr_C2R_dirReg
    .private_segment_fixed_size: 0
    .sgpr_count:     44
    .sgpr_spill_count: 0
    .symbol:         fft_rtc_back_len1386_factors_2_7_3_11_3_wgs_231_tpt_231_halfLds_sp_op_CI_CI_unitstride_sbrr_C2R_dirReg.kd
    .uniform_work_group_size: 1
    .uses_dynamic_stack: false
    .vgpr_count:     106
    .vgpr_spill_count: 0
    .wavefront_size: 64
amdhsa.target:   amdgcn-amd-amdhsa--gfx950
amdhsa.version:
  - 1
  - 2
...

	.end_amdgpu_metadata
